;; amdgpu-corpus repo=ROCm/rocFFT kind=compiled arch=gfx906 opt=O3
	.text
	.amdgcn_target "amdgcn-amd-amdhsa--gfx906"
	.amdhsa_code_object_version 6
	.protected	fft_rtc_fwd_len17_factors_17_wgs_120_tpt_1_half_op_CI_CI_sbrc_erc_z_xy_unaligned_dirReg ; -- Begin function fft_rtc_fwd_len17_factors_17_wgs_120_tpt_1_half_op_CI_CI_sbrc_erc_z_xy_unaligned_dirReg
	.globl	fft_rtc_fwd_len17_factors_17_wgs_120_tpt_1_half_op_CI_CI_sbrc_erc_z_xy_unaligned_dirReg
	.p2align	8
	.type	fft_rtc_fwd_len17_factors_17_wgs_120_tpt_1_half_op_CI_CI_sbrc_erc_z_xy_unaligned_dirReg,@function
fft_rtc_fwd_len17_factors_17_wgs_120_tpt_1_half_op_CI_CI_sbrc_erc_z_xy_unaligned_dirReg: ; @fft_rtc_fwd_len17_factors_17_wgs_120_tpt_1_half_op_CI_CI_sbrc_erc_z_xy_unaligned_dirReg
; %bb.0:
	s_load_dwordx8 s[8:15], s[4:5], 0x8
	s_waitcnt lgkmcnt(0)
	s_load_dwordx4 s[0:3], s[10:11], 0x8
	s_load_dwordx4 s[16:19], s[12:13], 0x0
	s_load_dword s7, s[12:13], 0x10
	s_waitcnt lgkmcnt(0)
	s_add_i32 s1, s0, -1
	s_mul_hi_u32 s1, s1, 0x88888889
	s_lshr_b32 s1, s1, 6
	s_add_i32 s3, s1, 1
	s_mul_i32 s2, s3, s2
	v_cvt_f32_u32_e32 v2, s2
	v_cvt_f32_u32_e32 v1, s3
	s_sub_i32 s10, 0, s2
	v_rcp_iflag_f32_e32 v2, v2
	v_rcp_iflag_f32_e32 v1, v1
	v_mul_f32_e32 v2, 0x4f7ffffe, v2
	v_cvt_u32_f32_e32 v2, v2
	v_mul_f32_e32 v1, 0x4f7ffffe, v1
	v_cvt_u32_f32_e32 v1, v1
	v_readfirstlane_b32 s19, v2
	s_mul_i32 s10, s10, s19
	s_mul_hi_u32 s10, s19, s10
	s_add_i32 s19, s19, s10
	s_mul_hi_u32 s10, s6, s19
	s_mul_i32 s19, s10, s2
	s_sub_i32 s19, s6, s19
	s_add_i32 s20, s10, 1
	s_sub_i32 s21, s19, s2
	s_cmp_ge_u32 s19, s2
	s_cselect_b32 s10, s20, s10
	s_cselect_b32 s19, s21, s19
	s_add_i32 s20, s10, 1
	s_cmp_ge_u32 s19, s2
	v_readfirstlane_b32 s11, v1
	s_cselect_b32 s19, s20, s10
	s_not_b32 s1, s1
	s_mul_i32 s1, s1, s11
	s_mul_i32 s2, s19, s2
	s_mul_hi_u32 s1, s11, s1
	s_sub_i32 s2, s6, s2
	s_add_i32 s11, s11, s1
	s_mul_hi_u32 s1, s2, s11
	s_mul_i32 s10, s1, s3
	s_sub_i32 s2, s2, s10
	s_add_i32 s20, s1, 1
	s_sub_i32 s10, s2, s3
	s_cmp_ge_u32 s2, s3
	s_cselect_b32 s1, s20, s1
	s_cselect_b32 s2, s10, s2
	s_add_i32 s10, s1, 1
	s_cmp_ge_u32 s2, s3
	s_cselect_b32 s24, s10, s1
	s_mul_hi_u32 s1, s6, s11
	s_mul_i32 s1, s1, s3
	s_sub_i32 s1, s6, s1
	s_sub_i32 s2, s1, s3
	s_cmp_ge_u32 s1, s3
	s_cselect_b32 s1, s2, s1
	s_sub_i32 s2, s1, s3
	s_cmp_ge_u32 s1, s3
	s_cselect_b32 s1, s2, s1
	s_mulk_i32 s1, 0x78
	s_mul_i32 s2, s24, s7
	s_mul_i32 s3, s1, s18
	s_add_i32 s22, s3, s2
	s_lshl_b64 s[6:7], s[8:9], 3
	s_add_u32 s8, s12, s6
	s_addc_u32 s9, s13, s7
	s_load_dwordx2 s[10:11], s[8:9], 0x0
	s_load_dwordx2 s[20:21], s[4:5], 0x58
	;; [unrolled: 1-line block ×3, first 2 shown]
	s_waitcnt lgkmcnt(0)
	s_mul_i32 s3, s11, s19
	s_mul_hi_u32 s8, s10, s19
	s_add_i32 s8, s8, s3
	s_mul_i32 s3, s10, s19
	s_add_u32 s22, s3, s22
	s_addc_u32 s23, s8, 0
	s_add_u32 s6, s14, s6
	s_addc_u32 s7, s15, s7
	s_load_dwordx4 s[8:11], s[14:15], 0x0
	s_load_dwordx2 s[12:13], s[6:7], 0x0
	s_add_i32 s3, s1, 0x78
	s_cmp_le_u32 s3, s0
	s_cselect_b64 s[6:7], -1, 0
	s_mov_b64 s[14:15], -1
	s_and_b64 vcc, exec, s[6:7]
	s_cbranch_vccz .LBB0_2
; %bb.1:
	v_mul_u32_u24_e32 v1, 0xf10, v0
	v_lshrrev_b32_e32 v3, 16, v1
	v_mul_lo_u16_e32 v1, 17, v3
	v_sub_u16_e32 v4, v0, v1
	v_mad_u64_u32 v[5:6], s[14:15], s16, v4, 0
	s_movk_i32 s14, 0xf10
	v_mov_b32_e32 v1, v6
	v_mad_u64_u32 v[6:7], s[26:27], s17, v4, v[1:2]
	s_lshl_b64 s[26:27], s[22:23], 2
	v_mul_lo_u32 v1, s18, v3
	v_lshlrev_b64 v[7:8], 2, v[5:6]
	v_add_u16_e32 v6, 0x78, v0
	v_mul_u32_u24_e32 v5, 0xf10, v6
	s_add_u32 s3, s20, s26
	v_lshrrev_b32_e32 v5, 16, v5
	s_waitcnt lgkmcnt(0)
	s_addc_u32 s11, s21, s27
	v_mul_lo_u16_e32 v9, 17, v5
	v_mov_b32_e32 v2, 0
	v_mov_b32_e32 v11, s11
	v_sub_u16_e32 v6, v6, v9
	v_add_co_u32_e32 v12, vcc, s3, v7
	v_mad_u64_u32 v[9:10], s[26:27], s16, v6, 0
	v_addc_co_u32_e32 v13, vcc, v11, v8, vcc
	v_lshlrev_b64 v[7:8], 2, v[1:2]
	v_mov_b32_e32 v1, v10
	v_add_co_u32_e32 v17, vcc, v12, v7
	v_addc_co_u32_e32 v18, vcc, v13, v8, vcc
	v_add_u16_e32 v8, 0xf0, v0
	v_mul_u32_u24_e32 v7, 0xf10, v8
	v_mad_u64_u32 v[10:11], s[26:27], s17, v6, v[1:2]
	v_lshrrev_b32_e32 v7, 16, v7
	v_mul_lo_u16_e32 v11, 17, v7
	v_sub_u16_e32 v8, v8, v11
	v_mul_lo_u32 v1, s18, v5
	v_mad_u64_u32 v[11:12], s[26:27], s16, v8, 0
	v_lshlrev_b64 v[9:10], 2, v[9:10]
	v_mov_b32_e32 v13, s11
	v_add_co_u32_e32 v14, vcc, s3, v9
	v_addc_co_u32_e32 v15, vcc, v13, v10, vcc
	v_lshlrev_b64 v[9:10], 2, v[1:2]
	v_mov_b32_e32 v1, v12
	v_mad_u64_u32 v[12:13], s[26:27], s17, v8, v[1:2]
	v_add_co_u32_e32 v19, vcc, v14, v9
	v_addc_co_u32_e32 v20, vcc, v15, v10, vcc
	v_add_u16_e32 v10, 0x168, v0
	v_mul_lo_u32 v1, s18, v7
	v_mul_u32_u24_e32 v9, 0xf10, v10
	v_lshlrev_b64 v[11:12], 2, v[11:12]
	v_lshrrev_b32_e32 v9, 16, v9
	v_mul_lo_u16_e32 v13, 17, v9
	v_mov_b32_e32 v15, s11
	v_sub_u16_e32 v10, v10, v13
	v_add_co_u32_e32 v16, vcc, s3, v11
	v_mad_u64_u32 v[13:14], s[26:27], s16, v10, 0
	v_addc_co_u32_e32 v22, vcc, v15, v12, vcc
	v_lshlrev_b64 v[11:12], 2, v[1:2]
	v_mov_b32_e32 v1, v14
	v_add_co_u32_e32 v21, vcc, v16, v11
	v_addc_co_u32_e32 v22, vcc, v22, v12, vcc
	v_add_u16_e32 v12, 0x1e0, v0
	v_mul_u32_u24_e32 v11, 0xf10, v12
	v_mad_u64_u32 v[14:15], s[26:27], s17, v10, v[1:2]
	v_lshrrev_b32_e32 v11, 16, v11
	v_mul_lo_u16_e32 v15, 17, v11
	v_sub_u16_e32 v12, v12, v15
	v_mul_lo_u32 v1, s18, v9
	v_mad_u64_u32 v[15:16], s[26:27], s16, v12, 0
	v_lshlrev_b64 v[13:14], 2, v[13:14]
	v_mov_b32_e32 v23, s11
	v_add_co_u32_e32 v25, vcc, s3, v13
	v_addc_co_u32_e32 v26, vcc, v23, v14, vcc
	v_lshlrev_b64 v[13:14], 2, v[1:2]
	v_mov_b32_e32 v1, v16
	v_mad_u64_u32 v[23:24], s[26:27], s17, v12, v[1:2]
	v_add_co_u32_e32 v24, vcc, v25, v13
	v_addc_co_u32_e32 v25, vcc, v26, v14, vcc
	v_add_u16_e32 v14, 0x258, v0
	v_mul_u32_u24_e32 v13, 0xf10, v14
	v_lshrrev_b32_e32 v13, 16, v13
	v_mul_lo_u16_e32 v26, 17, v13
	v_sub_u16_e32 v14, v14, v26
	v_mov_b32_e32 v16, v23
	v_mul_lo_u32 v1, s18, v11
	v_mad_u64_u32 v[26:27], s[26:27], s16, v14, 0
	v_lshlrev_b64 v[15:16], 2, v[15:16]
	v_mov_b32_e32 v23, s11
	v_add_co_u32_e32 v29, vcc, s3, v15
	v_addc_co_u32_e32 v23, vcc, v23, v16, vcc
	v_lshlrev_b64 v[15:16], 2, v[1:2]
	v_mov_b32_e32 v1, v27
	v_mad_u64_u32 v[27:28], s[26:27], s17, v14, v[1:2]
	v_add_co_u32_e32 v28, vcc, v29, v15
	v_addc_co_u32_e32 v29, vcc, v23, v16, vcc
	v_add_u16_e32 v16, 0x2d0, v0
	v_mul_u32_u24_e32 v15, 0xf10, v16
	v_lshrrev_b32_e32 v15, 16, v15
	v_mul_lo_u16_e32 v30, 17, v15
	v_sub_u16_e32 v16, v16, v30
	v_mul_lo_u32 v1, s18, v13
	v_mad_u64_u32 v[30:31], s[26:27], s16, v16, 0
	v_lshlrev_b64 v[26:27], 2, v[26:27]
	v_mov_b32_e32 v23, s11
	v_add_co_u32_e32 v33, vcc, s3, v26
	v_addc_co_u32_e32 v23, vcc, v23, v27, vcc
	v_lshlrev_b64 v[26:27], 2, v[1:2]
	v_mov_b32_e32 v1, v31
	v_mad_u64_u32 v[31:32], s[26:27], s17, v16, v[1:2]
	v_add_u16_e32 v32, 0x348, v0
	v_add_co_u32_e32 v26, vcc, v33, v26
	v_mul_u32_u24_e32 v33, 0xf10, v32
	v_lshrrev_b32_e32 v37, 16, v33
	v_mul_lo_u16_e32 v33, 17, v37
	v_sub_u16_e32 v38, v32, v33
	v_mul_lo_u32 v1, s18, v15
	v_mad_u64_u32 v[32:33], s[26:27], s16, v38, 0
	v_lshlrev_b64 v[30:31], 2, v[30:31]
	v_addc_co_u32_e32 v27, vcc, v23, v27, vcc
	v_mov_b32_e32 v23, s11
	v_add_co_u32_e32 v35, vcc, s3, v30
	v_addc_co_u32_e32 v23, vcc, v23, v31, vcc
	v_lshlrev_b64 v[30:31], 2, v[1:2]
	v_mov_b32_e32 v1, v33
	v_mad_u64_u32 v[33:34], s[26:27], s17, v38, v[1:2]
	v_mul_lo_u32 v1, s18, v37
	v_add_co_u32_e32 v30, vcc, v35, v30
	v_lshlrev_b64 v[32:33], 2, v[32:33]
	v_addc_co_u32_e32 v31, vcc, v23, v31, vcc
	v_mov_b32_e32 v23, s11
	v_add_co_u32_e32 v36, vcc, s3, v32
	v_addc_co_u32_e32 v23, vcc, v23, v33, vcc
	v_lshlrev_b64 v[32:33], 2, v[1:2]
	v_add_u16_e32 v1, 0x3c0, v0
	v_mul_u32_u24_e32 v34, 0xf10, v1
	v_lshrrev_b32_e32 v39, 16, v34
	v_mul_lo_u16_e32 v34, 17, v39
	v_sub_u16_e32 v40, v1, v34
	v_mad_u64_u32 v[34:35], s[26:27], s16, v40, 0
	v_add_co_u32_e32 v32, vcc, v36, v32
	v_mov_b32_e32 v1, v35
	v_mad_u64_u32 v[35:36], s[26:27], s17, v40, v[1:2]
	v_addc_co_u32_e32 v33, vcc, v23, v33, vcc
	global_load_dword v36, v[17:18], off
	global_load_dword v41, v[19:20], off
	;; [unrolled: 1-line block ×8, first 2 shown]
	v_add_u16_e32 v19, 0x438, v0
	v_mul_u32_u24_e32 v20, 0xf10, v19
	v_lshrrev_b32_e32 v29, 16, v20
	v_mul_lo_u16_e32 v20, 17, v29
	v_sub_u16_e32 v30, v19, v20
	v_mul_lo_u32 v1, s18, v39
	v_mad_u64_u32 v[19:20], s[26:27], s16, v30, 0
	v_lshlrev_b64 v[17:18], 2, v[34:35]
	v_mov_b32_e32 v21, s11
	v_add_co_u32_e32 v22, vcc, s3, v17
	v_addc_co_u32_e32 v23, vcc, v21, v18, vcc
	v_lshlrev_b64 v[17:18], 2, v[1:2]
	v_mov_b32_e32 v1, v20
	v_mad_u64_u32 v[20:21], s[26:27], s17, v30, v[1:2]
	v_add_u16_e32 v21, 0x4b0, v0
	v_add_co_u32_e32 v17, vcc, v22, v17
	v_mul_u32_u24_e32 v22, 0xf10, v21
	v_lshrrev_b32_e32 v31, 16, v22
	v_mul_lo_u16_e32 v22, 17, v31
	v_sub_u16_e32 v32, v21, v22
	v_mul_lo_u32 v1, s18, v29
	v_mad_u64_u32 v[21:22], s[26:27], s16, v32, 0
	v_lshlrev_b64 v[19:20], 2, v[19:20]
	v_addc_co_u32_e32 v18, vcc, v23, v18, vcc
	v_mov_b32_e32 v23, s11
	v_add_co_u32_e32 v24, vcc, s3, v19
	v_addc_co_u32_e32 v25, vcc, v23, v20, vcc
	v_lshlrev_b64 v[19:20], 2, v[1:2]
	v_mov_b32_e32 v1, v22
	v_mad_u64_u32 v[22:23], s[26:27], s17, v32, v[1:2]
	v_mul_lo_u32 v1, s18, v31
	v_add_co_u32_e32 v19, vcc, v24, v19
	v_lshlrev_b64 v[21:22], 2, v[21:22]
	v_addc_co_u32_e32 v20, vcc, v25, v20, vcc
	v_mov_b32_e32 v23, s11
	v_add_co_u32_e32 v25, vcc, s3, v21
	v_addc_co_u32_e32 v26, vcc, v23, v22, vcc
	v_lshlrev_b64 v[21:22], 2, v[1:2]
	v_add_u16_e32 v1, 0x528, v0
	v_mul_u32_u24_e32 v23, 0xf10, v1
	v_lshrrev_b32_e32 v33, 16, v23
	v_mul_lo_u16_e32 v23, 17, v33
	v_sub_u16_e32 v34, v1, v23
	v_mad_u64_u32 v[23:24], s[26:27], s16, v34, 0
	v_add_co_u32_e32 v21, vcc, v25, v21
	v_addc_co_u32_e32 v22, vcc, v26, v22, vcc
	global_load_dword v35, v[17:18], off
	global_load_dword v48, v[19:20], off
	;; [unrolled: 1-line block ×3, first 2 shown]
	v_add_u16_e32 v19, 0x5a0, v0
	v_mov_b32_e32 v1, v24
	v_mul_u32_u24_e32 v20, 0xf10, v19
	v_mad_u64_u32 v[24:25], s[26:27], s17, v34, v[1:2]
	v_lshrrev_b32_e32 v50, 16, v20
	v_mul_lo_u16_e32 v20, 17, v50
	v_sub_u16_e32 v51, v19, v20
	v_mul_lo_u32 v1, s18, v33
	v_mad_u64_u32 v[19:20], s[26:27], s16, v51, 0
	v_lshlrev_b64 v[17:18], 2, v[23:24]
	v_mov_b32_e32 v21, s11
	v_add_co_u32_e32 v22, vcc, s3, v17
	v_addc_co_u32_e32 v23, vcc, v21, v18, vcc
	v_lshlrev_b64 v[17:18], 2, v[1:2]
	v_mov_b32_e32 v1, v20
	v_mad_u64_u32 v[20:21], s[26:27], s17, v51, v[1:2]
	v_add_u16_e32 v21, 0x618, v0
	v_add_co_u32_e32 v17, vcc, v22, v17
	v_mul_u32_u24_e32 v22, 0xf10, v21
	v_lshrrev_b32_e32 v52, 16, v22
	v_mul_lo_u16_e32 v22, 17, v52
	v_sub_u16_e32 v53, v21, v22
	v_mul_lo_u32 v1, s18, v50
	v_mad_u64_u32 v[21:22], s[26:27], s16, v53, 0
	v_lshlrev_b64 v[19:20], 2, v[19:20]
	v_addc_co_u32_e32 v18, vcc, v23, v18, vcc
	v_mov_b32_e32 v23, s11
	v_add_co_u32_e32 v24, vcc, s3, v19
	v_addc_co_u32_e32 v25, vcc, v23, v20, vcc
	v_lshlrev_b64 v[19:20], 2, v[1:2]
	v_mov_b32_e32 v1, v22
	v_mad_u64_u32 v[22:23], s[26:27], s17, v53, v[1:2]
	v_add_u16_e32 v23, 0x690, v0
	v_add_co_u32_e32 v19, vcc, v24, v19
	v_mul_u32_u24_e32 v24, 0xf10, v23
	v_lshrrev_b32_e32 v54, 16, v24
	v_mul_lo_u16_e32 v24, 17, v54
	v_sub_u16_e32 v55, v23, v24
	v_mul_lo_u32 v1, s18, v52
	v_mad_u64_u32 v[23:24], s[26:27], s16, v55, 0
	v_lshlrev_b64 v[21:22], 2, v[21:22]
	v_addc_co_u32_e32 v20, vcc, v25, v20, vcc
	;; [unrolled: 16-line block ×3, first 2 shown]
	v_mov_b32_e32 v27, s11
	v_add_co_u32_e32 v28, vcc, s3, v23
	v_addc_co_u32_e32 v58, vcc, v27, v24, vcc
	v_lshlrev_b64 v[23:24], 2, v[1:2]
	v_mov_b32_e32 v1, v26
	v_mad_u64_u32 v[26:27], s[26:27], s17, v57, v[1:2]
	v_mul_lo_u32 v1, s18, v56
	v_add_co_u32_e32 v23, vcc, v28, v23
	v_lshlrev_b64 v[25:26], 2, v[25:26]
	v_addc_co_u32_e32 v24, vcc, v58, v24, vcc
	v_mov_b32_e32 v27, s11
	v_add_co_u32_e32 v58, vcc, s3, v25
	v_addc_co_u32_e32 v59, vcc, v27, v26, vcc
	v_lshlrev_b64 v[25:26], 2, v[1:2]
	v_or_b32_e32 v1, 0x780, v0
	v_mul_u32_u24_sdwa v27, v1, s14 dst_sel:DWORD dst_unused:UNUSED_PAD src0_sel:WORD_0 src1_sel:DWORD
	v_lshrrev_b32_e32 v60, 16, v27
	v_mul_lo_u16_e32 v27, 17, v60
	v_sub_u16_e32 v61, v1, v27
	v_mad_u64_u32 v[27:28], s[14:15], s16, v61, 0
	v_add_co_u32_e32 v25, vcc, v58, v25
	v_mov_b32_e32 v1, v28
	global_load_dword v58, v[17:18], off
	v_mad_u64_u32 v[17:18], s[14:15], s17, v61, v[1:2]
	v_mul_lo_u32 v1, s18, v60
	v_addc_co_u32_e32 v26, vcc, v59, v26, vcc
	v_mov_b32_e32 v28, v17
	v_lshlrev_b64 v[17:18], 2, v[27:28]
	global_load_dword v59, v[19:20], off
	global_load_dword v62, v[21:22], off
	;; [unrolled: 1-line block ×4, first 2 shown]
	v_mov_b32_e32 v19, s11
	v_add_co_u32_e32 v17, vcc, s3, v17
	v_lshlrev_b64 v[1:2], 2, v[1:2]
	v_addc_co_u32_e32 v18, vcc, v19, v18, vcc
	v_add_co_u32_e32 v1, vcc, v17, v1
	v_addc_co_u32_e32 v2, vcc, v18, v2, vcc
	global_load_dword v1, v[1:2], off
	v_mul_u32_u24_e32 v2, 0x48, v3
	v_lshlrev_b32_e32 v3, 2, v4
	v_add3_u32 v2, 0, v2, v3
	s_waitcnt vmcnt(16)
	ds_write_b32 v2, v36
	v_mul_u32_u24_e32 v2, 0x48, v5
	v_lshlrev_b32_e32 v3, 2, v6
	v_add3_u32 v2, 0, v2, v3
	s_waitcnt vmcnt(15)
	ds_write_b32 v2, v41
	;; [unrolled: 5-line block ×11, first 2 shown]
	v_mul_u32_u24_e32 v2, 0x48, v33
	v_lshlrev_b32_e32 v3, 2, v34
	v_add3_u32 v2, 0, v2, v3
	v_lshlrev_b32_e32 v3, 2, v51
	s_mov_b64 s[14:15], 0
	s_waitcnt vmcnt(5)
	ds_write_b32 v2, v58
	v_mul_u32_u24_e32 v2, 0x48, v50
	v_add3_u32 v2, 0, v2, v3
	v_lshlrev_b32_e32 v3, 2, v53
	s_waitcnt vmcnt(4)
	ds_write_b32 v2, v59
	v_mul_u32_u24_e32 v2, 0x48, v52
	v_add3_u32 v2, 0, v2, v3
	s_waitcnt vmcnt(3)
	ds_write_b32 v2, v62
	v_mul_u32_u24_e32 v2, 0x48, v54
	v_lshlrev_b32_e32 v3, 2, v55
	v_add3_u32 v2, 0, v2, v3
	s_waitcnt vmcnt(2)
	ds_write_b32 v2, v63
	v_mul_u32_u24_e32 v2, 0x48, v56
	v_lshlrev_b32_e32 v3, 2, v57
	;; [unrolled: 5-line block ×3, first 2 shown]
	v_add3_u32 v2, 0, v2, v3
	s_waitcnt vmcnt(0)
	ds_write_b32 v2, v1
.LBB0_2:
	s_load_dwordx2 s[4:5], s[4:5], 0x60
	s_andn2_b64 vcc, exec, s[14:15]
	s_cbranch_vccnz .LBB0_6
; %bb.3:
	s_lshl_b64 s[14:15], s[22:23], 2
	s_add_u32 s3, s20, s14
	s_addc_u32 s20, s21, s15
	s_mov_b64 s[14:15], 0
	s_waitcnt lgkmcnt(0)
	s_mov_b32 s11, 0xf0f1
	v_mov_b32_e32 v2, 0
	v_mov_b32_e32 v3, s20
	s_movk_i32 s20, 0x7f7
	v_mov_b32_e32 v4, v0
.LBB0_4:                                ; =>This Inner Loop Header: Depth=1
	v_mul_u32_u24_sdwa v1, v4, s11 dst_sel:DWORD dst_unused:UNUSED_PAD src0_sel:WORD_0 src1_sel:DWORD
	v_lshrrev_b32_e32 v11, 20, v1
	v_mul_lo_u16_e32 v5, 17, v11
	v_sub_u16_e32 v12, v4, v5
	v_mul_lo_u32 v1, v11, s18
	v_mad_u64_u32 v[5:6], s[22:23], s16, v12, 0
	v_add_u32_e32 v4, 0x78, v4
	v_lshlrev_b64 v[7:8], 2, v[1:2]
	v_mov_b32_e32 v1, v6
	v_mad_u64_u32 v[9:10], s[22:23], s17, v12, v[1:2]
	v_mov_b32_e32 v6, v9
	v_lshlrev_b64 v[5:6], 2, v[5:6]
	v_add_co_u32_e32 v1, vcc, s3, v5
	v_addc_co_u32_e32 v6, vcc, v3, v6, vcc
	v_add_co_u32_e32 v5, vcc, v1, v7
	v_addc_co_u32_e32 v6, vcc, v6, v8, vcc
	global_load_dword v1, v[5:6], off
	v_mul_u32_u24_e32 v5, 0x48, v11
	v_lshlrev_b32_e32 v6, 2, v12
	v_cmp_lt_u32_e32 vcc, s20, v4
	v_add3_u32 v5, 0, v5, v6
	s_or_b64 s[14:15], vcc, s[14:15]
	s_waitcnt vmcnt(0)
	ds_write_b32 v5, v1
	s_andn2_b64 exec, exec, s[14:15]
	s_cbranch_execnz .LBB0_4
; %bb.5:
	s_or_b64 exec, exec, s[14:15]
.LBB0_6:
	v_add_u32_e32 v1, s1, v0
	s_mov_b32 s3, 0x88888889
	v_mul_hi_u32 v2, v1, s3
	s_movk_i32 s3, 0x78
	s_waitcnt lgkmcnt(0)
	s_movk_i32 s11, 0x48
	v_lshrrev_b32_e32 v2, 6, v2
	v_mul_lo_u32 v2, v2, s3
	s_barrier
	s_movk_i32 s14, 0x3b76
	v_sub_u32_e32 v1, v1, v2
	v_mad_u32_u24 v1, v1, s11, 0
	ds_read2_b32 v[15:16], v1 offset0:5 offset1:6
	ds_read2_b32 v[13:14], v1 offset0:7 offset1:8
	ds_read2_b32 v[18:19], v1 offset0:9 offset1:10
	ds_read2_b32 v[20:21], v1 offset0:11 offset1:12
	ds_read_b32 v12, v1
	ds_read2_b32 v[27:28], v1 offset0:1 offset1:2
	ds_read2_b32 v[29:30], v1 offset0:3 offset1:4
	;; [unrolled: 1-line block ×3, first 2 shown]
	s_waitcnt lgkmcnt(5)
	v_add_f16_e32 v5, v19, v13
	v_add_f16_sdwa v6, v19, v13 dst_sel:DWORD dst_unused:UNUSED_PAD src0_sel:WORD_1 src1_sel:WORD_1
	s_waitcnt lgkmcnt(2)
	v_add_f16_e32 v9, v27, v12
	v_add_f16_sdwa v17, v27, v12 dst_sel:DWORD dst_unused:UNUSED_PAD src0_sel:WORD_1 src1_sel:WORD_1
	v_add_f16_e32 v9, v9, v28
	v_add_f16_sdwa v17, v17, v28 dst_sel:DWORD dst_unused:UNUSED_PAD src0_sel:DWORD src1_sel:WORD_1
	s_waitcnt lgkmcnt(1)
	v_add_f16_e32 v9, v9, v29
	v_add_f16_sdwa v17, v17, v29 dst_sel:DWORD dst_unused:UNUSED_PAD src0_sel:DWORD src1_sel:WORD_1
	v_add_f16_e32 v9, v9, v30
	v_add_f16_sdwa v17, v17, v30 dst_sel:DWORD dst_unused:UNUSED_PAD src0_sel:DWORD src1_sel:WORD_1
	;; [unrolled: 2-line block ×4, first 2 shown]
	v_sub_f16_e32 v7, v13, v19
	v_sub_f16_sdwa v8, v13, v19 dst_sel:DWORD dst_unused:UNUSED_PAD src0_sel:WORD_1 src1_sel:WORD_1
	v_add_f16_e32 v9, v9, v13
	v_add_f16_sdwa v13, v17, v13 dst_sel:DWORD dst_unused:UNUSED_PAD src0_sel:DWORD src1_sel:WORD_1
	v_add_f16_e32 v22, v9, v14
	v_add_f16_sdwa v13, v13, v14 dst_sel:DWORD dst_unused:UNUSED_PAD src0_sel:DWORD src1_sel:WORD_1
	v_add_f16_e32 v2, v18, v14
	v_add_f16_sdwa v3, v18, v14 dst_sel:DWORD dst_unused:UNUSED_PAD src0_sel:WORD_1 src1_sel:WORD_1
	v_sub_f16_e32 v4, v14, v18
	v_sub_f16_sdwa v9, v14, v18 dst_sel:DWORD dst_unused:UNUSED_PAD src0_sel:WORD_1 src1_sel:WORD_1
	v_add_f16_e32 v14, v22, v18
	v_add_f16_sdwa v13, v13, v18 dst_sel:DWORD dst_unused:UNUSED_PAD src0_sel:DWORD src1_sel:WORD_1
	v_add_f16_e32 v22, v14, v19
	v_add_f16_sdwa v19, v13, v19 dst_sel:DWORD dst_unused:UNUSED_PAD src0_sel:DWORD src1_sel:WORD_1
	;; [unrolled: 2-line block ×3, first 2 shown]
	v_add_f16_e32 v10, v21, v15
	v_add_f16_sdwa v11, v21, v15 dst_sel:DWORD dst_unused:UNUSED_PAD src0_sel:WORD_1 src1_sel:WORD_1
	v_sub_f16_e32 v17, v15, v21
	v_sub_f16_sdwa v18, v15, v21 dst_sel:DWORD dst_unused:UNUSED_PAD src0_sel:WORD_1 src1_sel:WORD_1
	v_add_f16_e32 v13, v20, v16
	v_add_f16_sdwa v14, v20, v16 dst_sel:DWORD dst_unused:UNUSED_PAD src0_sel:WORD_1 src1_sel:WORD_1
	v_sub_f16_e32 v15, v16, v20
	v_sub_f16_sdwa v16, v16, v20 dst_sel:DWORD dst_unused:UNUSED_PAD src0_sel:WORD_1 src1_sel:WORD_1
	v_add_f16_e32 v33, v22, v21
	v_add_f16_sdwa v34, v19, v21 dst_sel:DWORD dst_unused:UNUSED_PAD src0_sel:DWORD src1_sel:WORD_1
	s_waitcnt lgkmcnt(0)
	v_add_f16_e32 v23, v32, v29
	v_add_f16_sdwa v24, v32, v29 dst_sel:DWORD dst_unused:UNUSED_PAD src0_sel:WORD_1 src1_sel:WORD_1
	v_sub_f16_e32 v25, v29, v32
	v_sub_f16_sdwa v26, v29, v32 dst_sel:DWORD dst_unused:UNUSED_PAD src0_sel:WORD_1 src1_sel:WORD_1
	v_add_f16_e32 v19, v31, v30
	v_add_f16_sdwa v20, v31, v30 dst_sel:DWORD dst_unused:UNUSED_PAD src0_sel:WORD_1 src1_sel:WORD_1
	v_sub_f16_e32 v21, v30, v31
	v_sub_f16_sdwa v22, v30, v31 dst_sel:DWORD dst_unused:UNUSED_PAD src0_sel:WORD_1 src1_sel:WORD_1
	ds_read2_b32 v[29:30], v1 offset0:15 offset1:16
	v_add_f16_e32 v33, v33, v31
	v_add_f16_sdwa v31, v34, v31 dst_sel:DWORD dst_unused:UNUSED_PAD src0_sel:DWORD src1_sel:WORD_1
	v_add_f16_sdwa v31, v31, v32 dst_sel:DWORD dst_unused:UNUSED_PAD src0_sel:DWORD src1_sel:WORD_1
	v_add_f16_e32 v37, v33, v32
	s_waitcnt lgkmcnt(0)
	v_sub_f16_sdwa v43, v27, v30 dst_sel:DWORD dst_unused:UNUSED_PAD src0_sel:WORD_1 src1_sel:WORD_1
	v_add_f16_e32 v40, v30, v27
	v_add_f16_e32 v33, v29, v28
	v_add_f16_sdwa v34, v29, v28 dst_sel:DWORD dst_unused:UNUSED_PAD src0_sel:WORD_1 src1_sel:WORD_1
	v_sub_f16_e32 v35, v28, v29
	v_sub_f16_sdwa v36, v28, v29 dst_sel:DWORD dst_unused:UNUSED_PAD src0_sel:WORD_1 src1_sel:WORD_1
	v_add_f16_sdwa v28, v31, v29 dst_sel:DWORD dst_unused:UNUSED_PAD src0_sel:DWORD src1_sel:WORD_1
	v_mul_f16_e32 v45, 0xb5c8, v43
	v_sub_f16_e32 v42, v27, v30
	v_add_f16_sdwa v44, v28, v30 dst_sel:WORD_1 dst_unused:UNUSED_PAD src0_sel:DWORD src1_sel:WORD_1
	s_movk_i32 s11, 0x39e9
	v_fma_f16 v28, v40, s14, -v45
	v_mul_f16_e32 v46, 0xb964, v36
	v_add_f16_sdwa v41, v30, v27 dst_sel:DWORD dst_unused:UNUSED_PAD src0_sel:WORD_1 src1_sel:WORD_1
	v_add_f16_e32 v27, v37, v29
	v_add_f16_e32 v28, v28, v12
	v_fma_f16 v29, v33, s11, -v46
	v_mul_f16_e32 v47, 0xb5c8, v42
	v_add_f16_e32 v28, v29, v28
	v_fma_f16 v29, v41, s14, v47
	v_mul_f16_e32 v48, 0xb964, v35
	v_add_f16_e32 v27, v27, v30
	v_add_f16_sdwa v29, v29, v12 dst_sel:DWORD dst_unused:UNUSED_PAD src0_sel:DWORD src1_sel:WORD_1
	v_fma_f16 v30, v34, s11, v48
	v_mul_f16_e32 v49, 0xb964, v43
	v_add_f16_e32 v29, v30, v29
	s_movk_i32 s17, 0x2de8
	v_fma_f16 v30, v40, s11, -v49
	v_mul_f16_e32 v50, 0xbbf7, v36
	v_add_f16_e32 v30, v30, v12
	v_fma_f16 v31, v33, s17, -v50
	v_mul_f16_e32 v51, 0xb964, v42
	v_add_f16_e32 v30, v31, v30
	v_fma_f16 v31, v41, s11, v51
	v_mul_f16_e32 v52, 0xbbf7, v35
	v_add_f16_sdwa v31, v31, v12 dst_sel:DWORD dst_unused:UNUSED_PAD src0_sel:DWORD src1_sel:WORD_1
	v_fma_f16 v32, v34, s17, v52
	s_movk_i32 s15, 0x3722
	v_mul_f16_e32 v53, 0xbb29, v26
	v_add_f16_e32 v31, v32, v31
	v_fma_f16 v32, v23, s15, -v53
	v_mul_f16_e32 v54, 0xbb29, v25
	v_add_f16_e32 v28, v32, v28
	v_fma_f16 v32, v24, s15, v54
	s_mov_b32 s16, 0xb8d2
	v_mul_f16_e32 v55, 0xba62, v26
	v_add_f16_e32 v29, v32, v29
	v_fma_f16 v32, v23, s16, -v55
	v_mul_f16_e32 v56, 0xba62, v25
	v_add_f16_e32 v30, v32, v30
	v_fma_f16 v32, v24, s16, v56
	v_mul_f16_e32 v57, 0xbbf7, v22
	v_add_f16_e32 v31, v32, v31
	v_fma_f16 v32, v19, s17, -v57
	v_mul_f16_e32 v58, 0xbbf7, v21
	v_add_f16_e32 v28, v32, v28
	v_fma_f16 v32, v20, s17, v58
	s_mov_b32 s20, 0xbbdd
	v_mul_f16_e32 v59, 0xb1e1, v22
	v_add_f16_e32 v29, v32, v29
	v_fma_f16 v32, v19, s20, -v59
	v_mul_f16_e32 v60, 0xb1e1, v21
	v_add_f16_e32 v30, v32, v30
	v_fma_f16 v32, v20, s20, v60
	s_mov_b32 s18, 0xb461
	;; [unrolled: 7-line block ×3, first 2 shown]
	v_mul_f16_e32 v63, 0x3836, v18
	v_add_f16_e32 v29, v32, v29
	v_fma_f16 v32, v10, s21, -v63
	v_mul_f16_e32 v64, 0x3836, v17
	v_add_f16_e32 v30, v32, v30
	v_fma_f16 v32, v11, s21, v64
	v_mul_f16_e32 v37, 0xba62, v16
	v_add_f16_e32 v31, v32, v31
	v_fma_f16 v32, v13, s16, -v37
	v_mul_f16_e32 v65, 0xba62, v15
	v_add_f16_e32 v28, v32, v28
	v_fma_f16 v32, v14, s16, v65
	v_mul_f16_e32 v66, 0x3bb2, v16
	v_add_f16_e32 v32, v32, v29
	v_fma_f16 v29, v13, s18, -v66
	v_mul_f16_e32 v67, 0x3bb2, v15
	v_add_f16_e32 v30, v29, v30
	v_fma_f16 v29, v14, s18, v67
	v_add_f16_e32 v31, v29, v31
	v_mul_f16_e32 v29, 0xb836, v8
	v_fma_f16 v38, v5, s21, -v29
	v_add_f16_e32 v68, v38, v28
	v_mul_f16_e32 v38, 0xb836, v7
	v_fma_f16 v28, v6, s21, v38
	v_mul_f16_e32 v39, 0x3b29, v8
	v_add_f16_e32 v32, v28, v32
	v_fma_f16 v28, v5, s15, -v39
	v_mul_f16_e32 v70, 0x3b29, v7
	v_add_f16_e32 v69, v28, v30
	v_fma_f16 v28, v6, s15, v70
	v_add_f16_e32 v71, v28, v31
	v_mul_f16_e32 v28, 0xb1e1, v9
	v_fma_f16 v30, v2, s20, -v28
	v_add_f16_e32 v68, v30, v68
	v_mul_f16_e32 v30, 0xb1e1, v4
	v_fma_f16 v31, v3, s20, v30
	v_add_f16_e32 v72, v31, v32
	v_mul_f16_e32 v31, 0x35c8, v9
	v_fma_f16 v32, v2, s14, -v31
	v_add_f16_e32 v69, v32, v69
	v_mul_f16_e32 v32, 0x35c8, v4
	v_fma_f16 v73, v3, s14, v32
	v_add_f16_e32 v71, v73, v71
	v_pack_b32_f16 v69, v69, v71
	v_pack_b32_f16 v68, v68, v72
	s_barrier
	ds_write2_b32 v1, v68, v69 offset0:1 offset1:2
	v_mul_f16_e32 v69, 0xbb29, v42
	v_mul_f16_e32 v74, 0xbbf7, v42
	v_mul_f16_e32 v78, 0xbbb2, v42
	v_mul_f16_e32 v82, 0xba62, v42
	v_mul_f16_e32 v84, 0xb836, v42
	v_or_b32_e32 v27, v44, v27
	v_fma_f16 v44, v40, s14, v45
	v_fma_f16 v45, v41, s14, -v47
	v_fma_f16 v47, v40, s11, v49
	v_fma_f16 v49, v41, s11, -v51
	v_mul_f16_e32 v51, 0xbb29, v43
	v_fma_f16 v71, v41, s15, v69
	v_fma_f16 v69, v41, s15, -v69
	v_mul_f16_e32 v72, 0xbbf7, v43
	;; [unrolled: 3-line block ×4, first 2 shown]
	v_fma_f16 v83, v41, s16, v82
	v_fma_f16 v82, v41, s16, -v82
	v_fma_f16 v85, v41, s21, v84
	v_fma_f16 v84, v41, s21, -v84
	v_pack_b32_f16 v41, v41, v43
	v_mul_f16_e32 v43, 0xb836, v43
	v_fma_f16 v68, v40, s15, -v51
	v_fma_f16 v51, v40, s15, v51
	v_fma_f16 v73, v40, s17, -v72
	v_fma_f16 v72, v40, s17, v72
	;; [unrolled: 2-line block ×5, first 2 shown]
	v_pack_b32_f16 v40, v42, v40
	s_mov_b32 s23, 0xbbddb1e1
	s_mov_b32 s22, 0xb1e1bbdd
	v_pk_mul_f16 v40, v40, s23
	v_pk_fma_f16 v42, v41, s22, v40 neg_lo:[1,0,0] neg_hi:[1,0,0]
	v_pk_fma_f16 v87, v41, s22, v40
	v_pk_fma_f16 v40, v41, s22, v40 neg_lo:[0,0,1] neg_hi:[0,0,1]
	v_add_f16_e32 v41, v44, v12
	v_add_f16_sdwa v44, v45, v12 dst_sel:DWORD dst_unused:UNUSED_PAD src0_sel:DWORD src1_sel:WORD_1
	v_add_f16_e32 v45, v47, v12
	v_add_f16_sdwa v47, v49, v12 dst_sel:DWORD dst_unused:UNUSED_PAD src0_sel:DWORD src1_sel:WORD_1
	;; [unrolled: 2-line block ×12, first 2 shown]
	v_pk_add_f16 v42, v42, v12 op_sel:[0,1] op_sel_hi:[1,0]
	v_pk_add_f16 v86, v87, v12 op_sel:[0,1] op_sel_hi:[1,0]
	;; [unrolled: 1-line block ×3, first 2 shown]
	v_fma_f16 v40, v33, s11, v46
	v_add_f16_e32 v40, v40, v41
	v_fma_f16 v41, v34, s11, -v48
	v_add_f16_e32 v41, v41, v44
	v_fma_f16 v44, v33, s17, v50
	v_add_f16_e32 v44, v44, v45
	v_fma_f16 v45, v34, s17, -v52
	v_mul_f16_e32 v46, 0xba62, v36
	v_add_f16_e32 v45, v45, v47
	v_fma_f16 v47, v33, s16, -v46
	v_mul_f16_e32 v48, 0xba62, v35
	v_fma_f16 v46, v33, s16, v46
	v_mul_f16_e32 v50, 0xb1e1, v36
	v_add_f16_e32 v47, v47, v49
	v_fma_f16 v49, v34, s16, v48
	v_add_f16_e32 v46, v46, v51
	v_fma_f16 v48, v34, s16, -v48
	v_fma_f16 v51, v33, s20, -v50
	v_mul_f16_e32 v52, 0xb1e1, v35
	v_fma_f16 v50, v33, s20, v50
	v_add_f16_e32 v49, v49, v68
	v_add_f16_e32 v48, v48, v69
	v_fma_f16 v68, v34, s20, v52
	v_add_f16_e32 v50, v50, v72
	v_fma_f16 v52, v34, s20, -v52
	v_mul_f16_e32 v69, 0x3836, v36
	v_mul_f16_e32 v72, 0x3836, v35
	v_add_f16_e32 v51, v51, v71
	v_add_f16_e32 v68, v68, v73
	;; [unrolled: 1-line block ×3, first 2 shown]
	v_fma_f16 v71, v33, s21, -v69
	v_fma_f16 v73, v34, s21, v72
	v_fma_f16 v69, v33, s21, v69
	v_fma_f16 v72, v34, s21, -v72
	v_mul_f16_e32 v74, 0x3bb2, v36
	v_add_f16_e32 v71, v71, v75
	v_add_f16_e32 v69, v69, v76
	;; [unrolled: 1-line block ×3, first 2 shown]
	v_fma_f16 v75, v33, s18, -v74
	v_mul_f16_e32 v76, 0x3bb2, v35
	v_fma_f16 v74, v33, s18, v74
	v_mul_f16_e32 v78, 0x3b29, v36
	v_add_f16_e32 v73, v73, v77
	v_add_f16_e32 v75, v75, v79
	v_fma_f16 v77, v34, s18, v76
	v_add_f16_e32 v74, v74, v80
	v_fma_f16 v79, v33, s15, -v78
	v_mul_f16_e32 v80, 0x3b29, v35
	v_fma_f16 v78, v33, s15, v78
	v_pack_b32_f16 v33, v35, v33
	s_mov_b32 s23, 0x3b7635c8
	v_add_f16_e32 v77, v77, v81
	v_fma_f16 v76, v34, s18, -v76
	v_fma_f16 v81, v34, s15, v80
	v_add_f16_e32 v43, v78, v43
	v_fma_f16 v78, v34, s15, -v80
	v_pack_b32_f16 v34, v34, v36
	s_mov_b32 s22, 0x35c83b76
	v_pk_mul_f16 v33, v33, s23
	v_pk_fma_f16 v35, v34, s22, v33 neg_lo:[1,0,0] neg_hi:[1,0,0]
	v_pk_fma_f16 v36, v34, s22, v33
	v_pk_fma_f16 v33, v34, s22, v33 neg_lo:[0,0,1] neg_hi:[0,0,1]
	v_pk_add_f16 v12, v33, v12
	v_fma_f16 v33, v23, s15, v53
	v_fma_f16 v34, v24, s15, -v54
	v_pk_add_f16 v35, v35, v42
	v_add_f16_e32 v33, v33, v40
	v_add_f16_e32 v34, v34, v41
	v_fma_f16 v40, v23, s16, v55
	v_fma_f16 v41, v24, s16, -v56
	v_mul_f16_e32 v42, 0x31e1, v26
	v_add_f16_e32 v40, v40, v44
	v_add_f16_e32 v41, v41, v45
	v_fma_f16 v44, v23, s20, -v42
	v_mul_f16_e32 v45, 0x31e1, v25
	v_fma_f16 v42, v23, s20, v42
	v_add_f16_e32 v44, v44, v47
	v_fma_f16 v47, v24, s20, v45
	v_add_f16_e32 v42, v42, v46
	v_fma_f16 v45, v24, s20, -v45
	v_mul_f16_e32 v46, 0x3bb2, v26
	v_add_f16_e32 v47, v47, v49
	v_add_f16_e32 v45, v45, v48
	v_fma_f16 v48, v23, s18, -v46
	v_mul_f16_e32 v49, 0x3bb2, v25
	v_fma_f16 v46, v23, s18, v46
	v_add_f16_e32 v48, v48, v51
	v_fma_f16 v51, v24, s18, v49
	v_add_f16_e32 v46, v46, v50
	v_fma_f16 v49, v24, s18, -v49
	v_mul_f16_e32 v50, 0x3964, v26
	v_add_f16_e32 v49, v49, v52
	v_fma_f16 v52, v23, s11, -v50
	v_mul_f16_e32 v53, 0x3964, v25
	v_add_f16_e32 v52, v52, v71
	v_fma_f16 v54, v24, s11, v53
	v_fma_f16 v53, v24, s11, -v53
	v_mul_f16_e32 v55, 0xb5c8, v26
	v_mul_f16_e32 v71, 0xbbf7, v26
	v_add_f16_e32 v51, v51, v68
	v_add_f16_e32 v54, v54, v73
	v_fma_f16 v50, v23, s11, v50
	v_add_f16_e32 v53, v53, v72
	v_fma_f16 v56, v23, s14, -v55
	v_mul_f16_e32 v68, 0xb5c8, v25
	v_fma_f16 v55, v23, s14, v55
	v_fma_f16 v72, v23, s17, -v71
	v_mul_f16_e32 v73, 0xbbf7, v25
	v_fma_f16 v71, v23, s17, v71
	v_pack_b32_f16 v23, v25, v23
	s_mov_b32 s23, 0xbacdb836
	v_add_f16_e32 v50, v50, v69
	v_fma_f16 v69, v24, s14, v68
	v_add_f16_e32 v55, v55, v74
	v_fma_f16 v68, v24, s14, -v68
	v_fma_f16 v74, v24, s17, v73
	v_add_f16_e32 v43, v71, v43
	v_fma_f16 v71, v24, s17, -v73
	v_pack_b32_f16 v24, v24, v26
	s_mov_b32 s22, 0xb836bacd
	v_pk_mul_f16 v23, v23, s23
	v_pk_fma_f16 v25, v24, s22, v23 neg_lo:[1,0,0] neg_hi:[1,0,0]
	v_pk_add_f16 v36, v36, v86
	v_pk_add_f16 v25, v25, v35
	v_pk_fma_f16 v26, v24, s22, v23
	v_pk_fma_f16 v23, v24, s22, v23 neg_lo:[0,0,1] neg_hi:[0,0,1]
	v_mul_f16_e32 v35, 0x3bb2, v22
	v_pk_add_f16 v26, v26, v36
	v_pk_add_f16 v12, v23, v12
	v_fma_f16 v23, v19, s17, v57
	v_fma_f16 v36, v19, s18, -v35
	v_fma_f16 v35, v19, s18, v35
	v_add_f16_e32 v23, v23, v33
	v_fma_f16 v24, v20, s17, -v58
	v_fma_f16 v33, v19, s20, v59
	v_add_f16_e32 v35, v35, v42
	v_mul_f16_e32 v42, 0x35c8, v22
	v_add_f16_e32 v24, v24, v34
	v_add_f16_e32 v33, v33, v40
	v_fma_f16 v34, v20, s20, -v60
	v_add_f16_e32 v36, v36, v44
	v_mul_f16_e32 v40, 0x3bb2, v21
	v_fma_f16 v44, v19, s14, -v42
	v_fma_f16 v42, v19, s14, v42
	v_add_f16_e32 v34, v34, v41
	v_fma_f16 v41, v20, s18, v40
	v_fma_f16 v40, v20, s18, -v40
	v_add_f16_e32 v42, v42, v46
	v_mul_f16_e32 v46, 0xbb29, v22
	v_add_f16_e32 v40, v40, v45
	v_add_f16_e32 v44, v44, v48
	v_mul_f16_e32 v45, 0x35c8, v21
	v_fma_f16 v48, v19, s15, -v46
	v_fma_f16 v46, v19, s15, v46
	v_add_f16_e32 v41, v41, v47
	v_fma_f16 v47, v20, s14, v45
	v_fma_f16 v45, v20, s14, -v45
	v_add_f16_e32 v46, v46, v50
	v_mul_f16_e32 v50, 0xb836, v22
	v_add_f16_e32 v45, v45, v49
	v_add_f16_e32 v48, v48, v52
	v_mul_f16_e32 v49, 0xbb29, v21
	v_fma_f16 v52, v19, s21, -v50
	v_fma_f16 v50, v19, s21, v50
	v_add_f16_e32 v56, v56, v75
	v_add_f16_e32 v47, v47, v51
	v_fma_f16 v51, v20, s15, v49
	v_fma_f16 v49, v20, s15, -v49
	v_add_f16_e32 v50, v50, v55
	v_mul_f16_e32 v55, 0x3a62, v22
	v_add_f16_e32 v49, v49, v53
	v_add_f16_e32 v52, v52, v56
	v_mul_f16_e32 v53, 0xb836, v21
	v_fma_f16 v56, v19, s16, -v55
	v_mul_f16_e32 v57, 0x3a62, v21
	v_fma_f16 v55, v19, s16, v55
	v_pack_b32_f16 v19, v21, v19
	s_mov_b32 s23, 0x39e93964
	v_add_f16_e32 v51, v51, v54
	v_fma_f16 v54, v20, s21, v53
	v_fma_f16 v53, v20, s21, -v53
	v_fma_f16 v58, v20, s16, v57
	v_add_f16_e32 v43, v55, v43
	v_fma_f16 v55, v20, s16, -v57
	v_pack_b32_f16 v20, v20, v22
	s_mov_b32 s22, 0x396439e9
	v_pk_mul_f16 v19, v19, s23
	v_pk_fma_f16 v21, v20, s22, v19 neg_lo:[1,0,0] neg_hi:[1,0,0]
	v_pk_fma_f16 v22, v20, s22, v19
	v_pk_fma_f16 v19, v20, s22, v19 neg_lo:[0,0,1] neg_hi:[0,0,1]
	v_pk_add_f16 v12, v19, v12
	v_fma_f16 v19, v10, s18, v61
	v_pk_add_f16 v21, v21, v25
	v_add_f16_e32 v19, v19, v23
	v_fma_f16 v20, v11, s18, -v62
	v_fma_f16 v23, v10, s21, v63
	v_mul_f16_e32 v25, 0x3964, v18
	v_pk_add_f16 v22, v22, v26
	v_add_f16_e32 v20, v20, v24
	v_add_f16_e32 v23, v23, v33
	v_fma_f16 v24, v11, s21, -v64
	v_fma_f16 v26, v10, s11, -v25
	v_mul_f16_e32 v33, 0x3964, v17
	v_fma_f16 v25, v10, s11, v25
	v_add_f16_e32 v24, v24, v34
	v_fma_f16 v34, v11, s11, v33
	v_add_f16_e32 v25, v25, v35
	v_fma_f16 v33, v11, s11, -v33
	v_mul_f16_e32 v35, 0xbb29, v18
	v_add_f16_e32 v26, v26, v36
	v_add_f16_e32 v33, v33, v40
	v_fma_f16 v36, v10, s15, -v35
	v_mul_f16_e32 v40, 0xbb29, v17
	v_fma_f16 v35, v10, s15, v35
	v_add_f16_e32 v34, v34, v41
	v_fma_f16 v41, v11, s15, v40
	v_add_f16_e32 v35, v35, v42
	v_fma_f16 v40, v11, s15, -v40
	v_mul_f16_e32 v42, 0xb1e1, v18
	v_add_f16_e32 v36, v36, v44
	v_add_f16_e32 v40, v40, v45
	v_fma_f16 v44, v10, s20, -v42
	v_mul_f16_e32 v45, 0xb1e1, v17
	v_fma_f16 v42, v10, s20, v42
	v_add_f16_e32 v76, v76, v82
	v_add_f16_e32 v41, v41, v47
	v_fma_f16 v47, v11, s20, v45
	v_add_f16_e32 v42, v42, v46
	v_fma_f16 v45, v11, s20, -v45
	v_mul_f16_e32 v46, 0x3bf7, v18
	v_add_f16_e32 v68, v68, v76
	v_add_f16_e32 v44, v44, v48
	;; [unrolled: 1-line block ×3, first 2 shown]
	v_fma_f16 v48, v10, s17, -v46
	v_mul_f16_e32 v49, 0x3bf7, v17
	v_fma_f16 v46, v10, s17, v46
	v_add_f16_e32 v69, v69, v77
	v_add_f16_e32 v53, v53, v68
	;; [unrolled: 1-line block ×3, first 2 shown]
	v_fma_f16 v51, v11, s17, v49
	v_add_f16_e32 v46, v46, v50
	v_fma_f16 v49, v11, s17, -v49
	v_mul_f16_e32 v50, 0xb5c8, v18
	v_add_f16_e32 v54, v54, v69
	v_add_f16_e32 v48, v48, v52
	;; [unrolled: 1-line block ×3, first 2 shown]
	v_fma_f16 v52, v10, s14, -v50
	v_mul_f16_e32 v53, 0xb5c8, v17
	v_fma_f16 v50, v10, s14, v50
	v_pack_b32_f16 v10, v17, v10
	s_mov_b32 s23, 0xb8d2ba62
	v_add_f16_e32 v51, v51, v54
	v_fma_f16 v54, v11, s14, v53
	v_add_f16_e32 v43, v50, v43
	v_fma_f16 v50, v11, s14, -v53
	v_pack_b32_f16 v11, v11, v18
	s_mov_b32 s22, 0xba62b8d2
	v_pk_mul_f16 v10, v10, s23
	v_pk_fma_f16 v17, v11, s22, v10 neg_lo:[1,0,0] neg_hi:[1,0,0]
	v_pk_fma_f16 v18, v11, s22, v10
	v_pk_fma_f16 v10, v11, s22, v10 neg_lo:[0,0,1] neg_hi:[0,0,1]
	v_fma_f16 v11, v13, s16, v37
	v_pk_add_f16 v17, v17, v21
	v_pk_add_f16 v10, v10, v12
	v_add_f16_e32 v11, v11, v19
	v_fma_f16 v12, v14, s16, -v65
	v_fma_f16 v19, v13, s18, v66
	v_mul_f16_e32 v21, 0xb5c8, v16
	v_pk_add_f16 v18, v18, v22
	v_add_f16_e32 v12, v12, v20
	v_add_f16_e32 v19, v19, v23
	v_fma_f16 v20, v14, s18, -v67
	v_fma_f16 v22, v13, s14, -v21
	v_mul_f16_e32 v23, 0xb5c8, v15
	v_fma_f16 v21, v13, s14, v21
	v_add_f16_e32 v20, v20, v24
	v_fma_f16 v24, v14, s14, v23
	v_add_f16_e32 v21, v21, v25
	v_fma_f16 v23, v14, s14, -v23
	v_mul_f16_e32 v25, 0xb836, v16
	v_add_f16_e32 v22, v22, v26
	v_add_f16_e32 v23, v23, v33
	v_fma_f16 v26, v13, s21, -v25
	v_mul_f16_e32 v33, 0xb836, v15
	v_fma_f16 v25, v13, s21, v25
	v_add_f16_e32 v24, v24, v34
	v_fma_f16 v34, v14, s21, v33
	v_add_f16_e32 v25, v25, v35
	v_mul_f16_e32 v35, 0x3bf7, v16
	v_add_f16_e32 v26, v26, v36
	v_add_f16_e32 v34, v34, v41
	v_fma_f16 v36, v13, s17, -v35
	v_fma_f16 v35, v13, s17, v35
	v_mul_f16_e32 v41, 0xb964, v16
	v_fma_f16 v33, v14, s21, -v33
	v_mul_f16_e32 v37, 0x3bf7, v15
	v_add_f16_e32 v35, v35, v42
	v_fma_f16 v42, v13, s11, -v41
	v_fma_f16 v41, v13, s11, v41
	v_add_f16_e32 v33, v33, v40
	v_add_f16_e32 v36, v36, v44
	v_fma_f16 v40, v14, s17, v37
	v_fma_f16 v37, v14, s17, -v37
	v_mul_f16_e32 v44, 0xb964, v15
	v_add_f16_e32 v41, v41, v46
	v_mul_f16_e32 v46, 0xb1e1, v16
	v_add_f16_e32 v40, v40, v47
	v_add_f16_e32 v37, v37, v45
	;; [unrolled: 1-line block ×3, first 2 shown]
	v_fma_f16 v45, v14, s11, v44
	v_fma_f16 v44, v14, s11, -v44
	v_fma_f16 v47, v13, s20, -v46
	v_mul_f16_e32 v48, 0xb1e1, v15
	v_fma_f16 v46, v13, s20, v46
	v_pack_b32_f16 v13, v15, v13
	s_mov_b32 s23, 0x37223b29
	v_add_f16_e32 v44, v44, v49
	v_fma_f16 v49, v14, s20, v48
	v_add_f16_e32 v43, v46, v43
	v_fma_f16 v46, v14, s20, -v48
	v_pack_b32_f16 v14, v14, v16
	s_mov_b32 s22, 0x3b293722
	v_pk_mul_f16 v13, v13, s23
	v_pk_fma_f16 v15, v14, s22, v13 neg_lo:[1,0,0] neg_hi:[1,0,0]
	v_pk_fma_f16 v16, v14, s22, v13
	v_pk_fma_f16 v13, v14, s22, v13 neg_lo:[0,0,1] neg_hi:[0,0,1]
	v_pk_add_f16 v10, v13, v10
	v_fma_f16 v13, v5, s21, v29
	v_add_f16_e32 v11, v13, v11
	v_fma_f16 v13, v6, s21, -v38
	v_pk_add_f16 v15, v15, v17
	v_add_f16_e32 v12, v13, v12
	v_fma_f16 v13, v5, s15, v39
	v_mul_f16_e32 v17, 0xbbf7, v8
	v_pk_add_f16 v16, v16, v18
	v_add_f16_e32 v13, v13, v19
	v_fma_f16 v14, v6, s15, -v70
	v_fma_f16 v18, v5, s17, -v17
	v_mul_f16_e32 v19, 0xbbf7, v7
	v_fma_f16 v17, v5, s17, v17
	v_add_f16_e32 v14, v14, v20
	v_fma_f16 v20, v6, s17, v19
	v_add_f16_e32 v17, v17, v21
	v_fma_f16 v19, v6, s17, -v19
	v_mul_f16_e32 v21, 0x3a62, v8
	v_add_f16_e32 v18, v18, v22
	v_add_f16_e32 v19, v19, v23
	v_fma_f16 v22, v5, s16, -v21
	v_mul_f16_e32 v23, 0x3a62, v7
	v_fma_f16 v21, v5, s16, v21
	v_add_f16_e32 v20, v20, v24
	v_fma_f16 v24, v6, s16, v23
	v_add_f16_e32 v21, v21, v25
	v_fma_f16 v23, v6, s16, -v23
	v_mul_f16_e32 v25, 0xb5c8, v8
	v_mul_f16_e32 v29, 0xb5c8, v7
	v_add_f16_e32 v22, v22, v26
	v_add_f16_e32 v24, v24, v34
	;; [unrolled: 1-line block ×3, first 2 shown]
	v_fma_f16 v26, v5, s14, -v25
	v_fma_f16 v33, v6, s14, v29
	v_fma_f16 v25, v5, s14, v25
	v_mul_f16_e32 v34, 0xb1e1, v8
	v_mul_f16_e32 v38, 0x3964, v8
	v_add_f16_e32 v26, v26, v36
	v_add_f16_e32 v33, v33, v40
	;; [unrolled: 1-line block ×3, first 2 shown]
	v_fma_f16 v29, v6, s14, -v29
	v_fma_f16 v35, v5, s20, -v34
	v_mul_f16_e32 v36, 0xb1e1, v7
	v_fma_f16 v34, v5, s20, v34
	v_fma_f16 v39, v5, s11, -v38
	v_mul_f16_e32 v40, 0x3964, v7
	v_fma_f16 v38, v5, s11, v38
	v_pack_b32_f16 v5, v7, v5
	s_mov_b32 s22, 0xb461bbb2
	v_add_f16_e32 v29, v29, v37
	v_fma_f16 v37, v6, s20, v36
	v_add_f16_e32 v34, v34, v41
	v_fma_f16 v36, v6, s20, -v36
	v_fma_f16 v41, v6, s11, v40
	v_fma_f16 v40, v6, s11, -v40
	v_pack_b32_f16 v6, v6, v8
	s_mov_b32 s17, 0xbbb2b461
	v_pk_mul_f16 v5, v5, s22
	v_pk_fma_f16 v7, v6, s17, v5 neg_lo:[1,0,0] neg_hi:[1,0,0]
	v_pk_fma_f16 v8, v6, s17, v5
	v_pk_fma_f16 v5, v6, s17, v5 neg_lo:[0,0,1] neg_hi:[0,0,1]
	v_fma_f16 v6, v2, s20, v28
	v_pk_add_f16 v5, v5, v10
	v_add_f16_e32 v6, v6, v11
	v_fma_f16 v10, v3, s20, -v30
	v_fma_f16 v11, v2, s14, v31
	v_add_f16_e32 v10, v10, v12
	v_add_f16_e32 v11, v11, v13
	v_fma_f16 v12, v3, s14, -v32
	v_mul_f16_e32 v13, 0xb836, v9
	v_add_f16_e32 v12, v12, v14
	v_fma_f16 v14, v2, s21, -v13
	v_fma_f16 v13, v2, s21, v13
	v_pk_add_f16 v7, v7, v15
	v_mul_f16_e32 v15, 0xb836, v4
	v_add_f16_e32 v13, v13, v17
	v_mul_f16_e32 v17, 0x3964, v9
	v_pk_add_f16 v8, v8, v16
	v_add_f16_e32 v14, v14, v18
	v_fma_f16 v16, v3, s21, v15
	v_fma_f16 v15, v3, s21, -v15
	v_fma_f16 v18, v2, s11, -v17
	v_fma_f16 v17, v2, s11, v17
	v_add_f16_e32 v15, v15, v19
	v_mul_f16_e32 v19, 0x3964, v4
	v_add_f16_e32 v17, v17, v21
	v_mul_f16_e32 v21, 0xba62, v9
	v_add_f16_e32 v16, v16, v20
	v_add_f16_e32 v18, v18, v22
	v_fma_f16 v20, v3, s11, v19
	v_fma_f16 v19, v3, s11, -v19
	v_fma_f16 v22, v2, s16, -v21
	v_fma_f16 v21, v2, s16, v21
	v_add_f16_e32 v79, v79, v83
	v_add_f16_e32 v81, v81, v85
	v_add_f16_e32 v19, v19, v23
	v_mul_f16_e32 v23, 0xba62, v4
	v_add_f16_e32 v21, v21, v25
	v_mul_f16_e32 v25, 0x3b29, v9
	v_mul_f16_e32 v30, 0xbbb2, v9
	v_add_f16_e32 v72, v72, v79
	v_add_f16_e32 v74, v74, v81
	;; [unrolled: 1-line block ×4, first 2 shown]
	v_fma_f16 v24, v3, s16, v23
	v_fma_f16 v23, v3, s16, -v23
	v_fma_f16 v26, v2, s15, -v25
	v_mul_f16_e32 v28, 0x3b29, v4
	v_fma_f16 v25, v2, s15, v25
	v_fma_f16 v31, v2, s18, -v30
	v_mul_f16_e32 v32, 0xbbb2, v4
	v_fma_f16 v30, v2, s18, v30
	v_pack_b32_f16 v2, v4, v2
	s_mov_b32 s14, 0x2de83bf7
	v_add_f16_e32 v78, v78, v84
	v_add_f16_e32 v56, v56, v72
	;; [unrolled: 1-line block ×5, first 2 shown]
	v_fma_f16 v29, v3, s15, v28
	v_fma_f16 v28, v3, s15, -v28
	v_fma_f16 v33, v3, s18, v32
	v_fma_f16 v32, v3, s18, -v32
	v_pack_b32_f16 v3, v3, v9
	s_mov_b32 s11, 0x3bf72de8
	v_pk_mul_f16 v2, v2, s14
	v_add_f16_e32 v71, v71, v78
	v_add_f16_e32 v52, v52, v56
	;; [unrolled: 1-line block ×4, first 2 shown]
	v_pk_fma_f16 v4, v3, s11, v2 neg_lo:[1,0,0] neg_hi:[1,0,0]
	v_add_f16_e32 v55, v55, v71
	v_add_f16_e32 v47, v47, v52
	;; [unrolled: 1-line block ×5, first 2 shown]
	v_pk_add_f16 v4, v4, v7
	v_pk_fma_f16 v7, v3, s11, v2
	v_pk_fma_f16 v2, v3, s11, v2 neg_lo:[0,0,1] neg_hi:[0,0,1]
	v_add_f16_e32 v50, v50, v55
	v_add_f16_e32 v39, v39, v47
	;; [unrolled: 1-line block ×5, first 2 shown]
	v_pk_add_f16 v2, v2, v5
	v_pack_b32_f16 v3, v18, v20
	v_pack_b32_f16 v5, v14, v16
	v_add_f16_e32 v46, v46, v50
	v_add_f16_e32 v31, v31, v39
	;; [unrolled: 1-line block ×3, first 2 shown]
	ds_write2_b32 v1, v5, v3 offset0:3 offset1:4
	v_pack_b32_f16 v3, v26, v29
	v_pack_b32_f16 v5, v22, v24
	v_add_f16_e32 v36, v36, v44
	v_add_f16_e32 v38, v38, v43
	;; [unrolled: 1-line block ×3, first 2 shown]
	v_pk_add_f16 v7, v7, v8
	s_mul_i32 s24, s24, s10
	s_mul_i32 s10, s9, s1
	s_mul_hi_u32 s11, s8, s1
	ds_write2_b32 v1, v5, v3 offset0:5 offset1:6
	v_pack_b32_f16 v3, v31, v33
	v_add_f16_e32 v25, v25, v34
	v_add_f16_e32 v28, v28, v36
	;; [unrolled: 1-line block ×4, first 2 shown]
	s_add_i32 s11, s11, s10
	s_mul_i32 s10, s8, s1
	ds_write2_b32 v1, v27, v3 offset1:7
	v_alignbit_b32 v2, v2, v7, 16
	v_alignbit_b32 v3, v7, v4, 16
	s_add_u32 s10, s10, s24
	s_mul_i32 s13, s13, s19
	s_mul_hi_u32 s14, s12, s19
	ds_write2_b32 v1, v3, v2 offset0:8 offset1:9
	v_pack_b32_f16 v2, v25, v28
	v_pack_b32_f16 v3, v30, v32
	s_addc_u32 s11, s11, 0
	s_add_i32 s14, s14, s13
	s_mul_i32 s12, s12, s19
	ds_write2_b32 v1, v3, v2 offset0:10 offset1:11
	v_pack_b32_f16 v2, v17, v19
	v_pack_b32_f16 v3, v21, v23
	s_add_u32 s10, s10, s12
	ds_write2_b32 v1, v3, v2 offset0:12 offset1:13
	v_pack_b32_f16 v2, v11, v12
	v_pack_b32_f16 v3, v13, v15
	s_mov_b32 s12, 0x2222223
	ds_write2_b32 v1, v3, v2 offset0:14 offset1:15
	v_mul_hi_u32 v3, v0, s12
	v_pack_b32_f16 v2, v6, v10
	ds_write_b32 v1, v2 offset:64
	s_addc_u32 s11, s11, s14
	v_mul_u32_u24_e32 v1, 0x78, v3
	v_sub_u32_e32 v4, v0, v1
	s_andn2_b64 vcc, exec, s[6:7]
	s_mov_b64 s[6:7], -1
	s_waitcnt lgkmcnt(0)
	s_barrier
	s_cbranch_vccnz .LBB0_10
; %bb.7:
	v_mad_u64_u32 v[6:7], s[6:7], s8, v4, 0
	v_mul_lo_u32 v1, v3, s2
	v_mul_i32_i24_e32 v5, 0x48, v4
	v_mov_b32_e32 v2, v7
	v_mad_u64_u32 v[7:8], s[6:7], s9, v4, v[2:3]
	s_lshl_b64 s[6:7], s[10:11], 2
	v_lshlrev_b32_e32 v8, 2, v3
	s_add_u32 s6, s4, s6
	v_lshlrev_b64 v[6:7], 2, v[6:7]
	v_add3_u32 v5, 0, v5, v8
	s_addc_u32 s7, s5, s7
	v_mov_b32_e32 v2, 0
	ds_read2_b32 v[8:9], v5 offset1:1
	v_mov_b32_e32 v10, s7
	v_add_co_u32_e32 v6, vcc, s6, v6
	v_addc_co_u32_e32 v7, vcc, v10, v7, vcc
	v_lshlrev_b64 v[10:11], 2, v[1:2]
	v_add_u32_e32 v1, s2, v1
	v_add_co_u32_e32 v10, vcc, v6, v10
	v_addc_co_u32_e32 v11, vcc, v7, v11, vcc
	ds_read2_b32 v[12:13], v5 offset0:2 offset1:3
	ds_read2_b32 v[14:15], v5 offset0:4 offset1:5
	;; [unrolled: 1-line block ×3, first 2 shown]
	s_waitcnt lgkmcnt(3)
	global_store_dword v[10:11], v8, off
	v_lshlrev_b64 v[10:11], 2, v[1:2]
	v_add_u32_e32 v1, s2, v1
	v_add_co_u32_e32 v10, vcc, v6, v10
	v_addc_co_u32_e32 v11, vcc, v7, v11, vcc
	global_store_dword v[10:11], v9, off
	v_lshlrev_b64 v[8:9], 2, v[1:2]
	v_add_u32_e32 v1, s2, v1
	v_add_co_u32_e32 v8, vcc, v6, v8
	v_addc_co_u32_e32 v9, vcc, v7, v9, vcc
	s_waitcnt lgkmcnt(2)
	global_store_dword v[8:9], v12, off
	v_lshlrev_b64 v[8:9], 2, v[1:2]
	v_add_u32_e32 v1, s2, v1
	v_add_co_u32_e32 v8, vcc, v6, v8
	v_addc_co_u32_e32 v9, vcc, v7, v9, vcc
	global_store_dword v[8:9], v13, off
	v_lshlrev_b64 v[8:9], 2, v[1:2]
	v_add_u32_e32 v1, s2, v1
	v_add_co_u32_e32 v8, vcc, v6, v8
	v_addc_co_u32_e32 v9, vcc, v7, v9, vcc
	;; [unrolled: 11-line block ×3, first 2 shown]
	s_waitcnt lgkmcnt(0)
	global_store_dword v[8:9], v16, off
	v_lshlrev_b64 v[8:9], 2, v[1:2]
	v_add_u32_e32 v1, s2, v1
	v_add_co_u32_e32 v8, vcc, v6, v8
	v_addc_co_u32_e32 v9, vcc, v7, v9, vcc
	global_store_dword v[8:9], v17, off
	ds_read2_b32 v[8:9], v5 offset0:8 offset1:9
	v_lshlrev_b64 v[10:11], 2, v[1:2]
	v_add_u32_e32 v1, s2, v1
	v_add_co_u32_e32 v10, vcc, v6, v10
	v_addc_co_u32_e32 v11, vcc, v7, v11, vcc
	ds_read2_b32 v[12:13], v5 offset0:10 offset1:11
	ds_read2_b32 v[14:15], v5 offset0:12 offset1:13
	;; [unrolled: 1-line block ×3, first 2 shown]
	s_waitcnt lgkmcnt(3)
	global_store_dword v[10:11], v8, off
	v_lshlrev_b64 v[10:11], 2, v[1:2]
	v_add_u32_e32 v1, s2, v1
	v_add_co_u32_e32 v10, vcc, v6, v10
	v_addc_co_u32_e32 v11, vcc, v7, v11, vcc
	global_store_dword v[10:11], v9, off
	v_lshlrev_b64 v[8:9], 2, v[1:2]
	v_add_u32_e32 v1, s2, v1
	v_add_co_u32_e32 v8, vcc, v6, v8
	v_addc_co_u32_e32 v9, vcc, v7, v9, vcc
	s_waitcnt lgkmcnt(2)
	global_store_dword v[8:9], v12, off
	v_lshlrev_b64 v[8:9], 2, v[1:2]
	v_add_u32_e32 v1, s2, v1
	v_add_co_u32_e32 v8, vcc, v6, v8
	v_addc_co_u32_e32 v9, vcc, v7, v9, vcc
	global_store_dword v[8:9], v13, off
	v_lshlrev_b64 v[8:9], 2, v[1:2]
	v_add_u32_e32 v1, s2, v1
	v_add_co_u32_e32 v8, vcc, v6, v8
	v_addc_co_u32_e32 v9, vcc, v7, v9, vcc
	;; [unrolled: 11-line block ×3, first 2 shown]
	s_waitcnt lgkmcnt(0)
	global_store_dword v[8:9], v16, off
	v_lshlrev_b64 v[8:9], 2, v[1:2]
	v_add_u32_e32 v1, s2, v1
	v_add_co_u32_e32 v8, vcc, v6, v8
	v_addc_co_u32_e32 v9, vcc, v7, v9, vcc
	global_store_dword v[8:9], v17, off
	ds_read_b32 v10, v5 offset:64
	v_lshlrev_b64 v[8:9], 2, v[1:2]
	v_add_co_u32_e32 v8, vcc, v6, v8
	v_addc_co_u32_e32 v9, vcc, v7, v9, vcc
	v_cmp_gt_u32_e32 vcc, s3, v0
	s_waitcnt lgkmcnt(0)
	global_store_dword v[8:9], v10, off
	s_and_saveexec_b64 s[6:7], vcc
	s_cbranch_execz .LBB0_9
; %bb.8:
	v_add_u32_e32 v1, s2, v1
	ds_read_b32 v5, v5 offset:68
	v_lshlrev_b64 v[1:2], 2, v[1:2]
	v_add_co_u32_e32 v1, vcc, v6, v1
	v_addc_co_u32_e32 v2, vcc, v7, v2, vcc
	s_waitcnt lgkmcnt(0)
	global_store_dword v[1:2], v5, off
.LBB0_9:
	s_or_b64 exec, exec, s[6:7]
	s_mov_b64 s[6:7], 0
.LBB0_10:
	s_andn2_b64 vcc, exec, s[6:7]
	s_cbranch_vccnz .LBB0_14
; %bb.11:
	v_add_u32_e32 v1, s1, v4
	v_cmp_gt_u32_e32 vcc, s0, v1
	s_and_saveexec_b64 s[6:7], vcc
	s_cbranch_execz .LBB0_14
; %bb.12:
	v_mad_u64_u32 v[5:6], s[6:7], s8, v4, 0
	v_mul_lo_u32 v1, v3, s2
	s_movk_i32 s1, 0x48
	v_mov_b32_e32 v2, v6
	v_mad_u64_u32 v[6:7], s[6:7], s9, v4, v[2:3]
	s_lshl_b64 s[6:7], s[10:11], 2
	v_mad_i32_i24 v4, v4, s1, 0
	s_add_u32 s1, s4, s6
	v_lshlrev_b64 v[5:6], 2, v[5:6]
	v_lshl_add_u32 v17, v3, 2, v4
	s_addc_u32 s3, s5, s7
	v_mov_b32_e32 v2, 0
	ds_read2_b32 v[7:8], v17 offset1:1
	v_mov_b32_e32 v9, s3
	v_add_co_u32_e32 v3, vcc, s1, v5
	v_addc_co_u32_e32 v5, vcc, v9, v6, vcc
	v_lshlrev_b64 v[9:10], 2, v[1:2]
	v_add_u32_e32 v1, s2, v1
	v_add_co_u32_e32 v9, vcc, v3, v9
	v_addc_co_u32_e32 v10, vcc, v5, v10, vcc
	ds_read2_b32 v[11:12], v17 offset0:2 offset1:3
	ds_read2_b32 v[13:14], v17 offset0:4 offset1:5
	;; [unrolled: 1-line block ×3, first 2 shown]
	s_waitcnt lgkmcnt(3)
	global_store_dword v[9:10], v7, off
	v_lshlrev_b64 v[6:7], 2, v[1:2]
	v_add_u32_e32 v1, s2, v1
	v_add_co_u32_e32 v6, vcc, v3, v6
	v_addc_co_u32_e32 v7, vcc, v5, v7, vcc
	global_store_dword v[6:7], v8, off
	v_lshlrev_b64 v[6:7], 2, v[1:2]
	v_add_u32_e32 v1, s2, v1
	v_add_co_u32_e32 v6, vcc, v3, v6
	v_addc_co_u32_e32 v7, vcc, v5, v7, vcc
	s_waitcnt lgkmcnt(2)
	global_store_dword v[6:7], v11, off
	v_lshlrev_b64 v[6:7], 2, v[1:2]
	v_add_u32_e32 v1, s2, v1
	v_add_co_u32_e32 v6, vcc, v3, v6
	v_addc_co_u32_e32 v7, vcc, v5, v7, vcc
	global_store_dword v[6:7], v12, off
	v_lshlrev_b64 v[6:7], 2, v[1:2]
	v_add_u32_e32 v1, s2, v1
	v_add_co_u32_e32 v6, vcc, v3, v6
	v_addc_co_u32_e32 v7, vcc, v5, v7, vcc
	;; [unrolled: 11-line block ×3, first 2 shown]
	s_waitcnt lgkmcnt(0)
	global_store_dword v[6:7], v15, off
	v_lshlrev_b64 v[6:7], 2, v[1:2]
	v_add_u32_e32 v1, s2, v1
	v_add_co_u32_e32 v6, vcc, v3, v6
	v_addc_co_u32_e32 v7, vcc, v5, v7, vcc
	global_store_dword v[6:7], v16, off
	ds_read2_b32 v[6:7], v17 offset0:8 offset1:9
	v_lshlrev_b64 v[8:9], 2, v[1:2]
	v_add_u32_e32 v1, s2, v1
	v_add_co_u32_e32 v8, vcc, v3, v8
	v_addc_co_u32_e32 v9, vcc, v5, v9, vcc
	ds_read2_b32 v[10:11], v17 offset0:10 offset1:11
	ds_read2_b32 v[12:13], v17 offset0:12 offset1:13
	;; [unrolled: 1-line block ×3, first 2 shown]
	s_waitcnt lgkmcnt(3)
	global_store_dword v[8:9], v6, off
	v_lshlrev_b64 v[8:9], 2, v[1:2]
	v_add_u32_e32 v1, s2, v1
	v_add_co_u32_e32 v8, vcc, v3, v8
	v_addc_co_u32_e32 v9, vcc, v5, v9, vcc
	global_store_dword v[8:9], v7, off
	v_lshlrev_b64 v[6:7], 2, v[1:2]
	v_add_u32_e32 v1, s2, v1
	v_add_co_u32_e32 v6, vcc, v3, v6
	v_addc_co_u32_e32 v7, vcc, v5, v7, vcc
	s_waitcnt lgkmcnt(2)
	global_store_dword v[6:7], v10, off
	v_lshlrev_b64 v[6:7], 2, v[1:2]
	v_add_u32_e32 v1, s2, v1
	v_add_co_u32_e32 v6, vcc, v3, v6
	v_addc_co_u32_e32 v7, vcc, v5, v7, vcc
	global_store_dword v[6:7], v11, off
	v_lshlrev_b64 v[6:7], 2, v[1:2]
	v_add_u32_e32 v1, s2, v1
	v_add_co_u32_e32 v6, vcc, v3, v6
	v_addc_co_u32_e32 v7, vcc, v5, v7, vcc
	;; [unrolled: 11-line block ×3, first 2 shown]
	s_waitcnt lgkmcnt(0)
	global_store_dword v[6:7], v14, off
	v_lshlrev_b64 v[6:7], 2, v[1:2]
	v_add_u32_e32 v1, s2, v1
	v_add_co_u32_e32 v6, vcc, v3, v6
	v_addc_co_u32_e32 v7, vcc, v5, v7, vcc
	global_store_dword v[6:7], v15, off
	ds_read_b32 v8, v17 offset:64
	v_lshlrev_b64 v[6:7], 2, v[1:2]
	s_mul_hi_u32 s1, s0, 0x88888889
	s_lshr_b32 s1, s1, 6
	v_add_co_u32_e32 v6, vcc, v3, v6
	s_mulk_i32 s1, 0x78
	v_addc_co_u32_e32 v7, vcc, v5, v7, vcc
	s_sub_i32 s0, s0, s1
	v_cmp_gt_u32_e32 vcc, s0, v0
	s_waitcnt lgkmcnt(0)
	global_store_dword v[6:7], v8, off
	s_and_b64 exec, exec, vcc
	s_cbranch_execz .LBB0_14
; %bb.13:
	v_add_u32_e32 v1, s2, v1
	ds_read_b32 v4, v4 offset:68
	v_lshlrev_b64 v[0:1], 2, v[1:2]
	v_add_co_u32_e32 v0, vcc, v3, v0
	v_addc_co_u32_e32 v1, vcc, v5, v1, vcc
	s_waitcnt lgkmcnt(0)
	global_store_dword v[0:1], v4, off
.LBB0_14:
	s_endpgm
	.section	.rodata,"a",@progbits
	.p2align	6, 0x0
	.amdhsa_kernel fft_rtc_fwd_len17_factors_17_wgs_120_tpt_1_half_op_CI_CI_sbrc_erc_z_xy_unaligned_dirReg
		.amdhsa_group_segment_fixed_size 0
		.amdhsa_private_segment_fixed_size 0
		.amdhsa_kernarg_size 104
		.amdhsa_user_sgpr_count 6
		.amdhsa_user_sgpr_private_segment_buffer 1
		.amdhsa_user_sgpr_dispatch_ptr 0
		.amdhsa_user_sgpr_queue_ptr 0
		.amdhsa_user_sgpr_kernarg_segment_ptr 1
		.amdhsa_user_sgpr_dispatch_id 0
		.amdhsa_user_sgpr_flat_scratch_init 0
		.amdhsa_user_sgpr_private_segment_size 0
		.amdhsa_uses_dynamic_stack 0
		.amdhsa_system_sgpr_private_segment_wavefront_offset 0
		.amdhsa_system_sgpr_workgroup_id_x 1
		.amdhsa_system_sgpr_workgroup_id_y 0
		.amdhsa_system_sgpr_workgroup_id_z 0
		.amdhsa_system_sgpr_workgroup_info 0
		.amdhsa_system_vgpr_workitem_id 0
		.amdhsa_next_free_vgpr 88
		.amdhsa_next_free_sgpr 28
		.amdhsa_reserve_vcc 1
		.amdhsa_reserve_flat_scratch 0
		.amdhsa_float_round_mode_32 0
		.amdhsa_float_round_mode_16_64 0
		.amdhsa_float_denorm_mode_32 3
		.amdhsa_float_denorm_mode_16_64 3
		.amdhsa_dx10_clamp 1
		.amdhsa_ieee_mode 1
		.amdhsa_fp16_overflow 0
		.amdhsa_exception_fp_ieee_invalid_op 0
		.amdhsa_exception_fp_denorm_src 0
		.amdhsa_exception_fp_ieee_div_zero 0
		.amdhsa_exception_fp_ieee_overflow 0
		.amdhsa_exception_fp_ieee_underflow 0
		.amdhsa_exception_fp_ieee_inexact 0
		.amdhsa_exception_int_div_zero 0
	.end_amdhsa_kernel
	.text
.Lfunc_end0:
	.size	fft_rtc_fwd_len17_factors_17_wgs_120_tpt_1_half_op_CI_CI_sbrc_erc_z_xy_unaligned_dirReg, .Lfunc_end0-fft_rtc_fwd_len17_factors_17_wgs_120_tpt_1_half_op_CI_CI_sbrc_erc_z_xy_unaligned_dirReg
                                        ; -- End function
	.section	.AMDGPU.csdata,"",@progbits
; Kernel info:
; codeLenInByte = 9616
; NumSgprs: 32
; NumVgprs: 88
; ScratchSize: 0
; MemoryBound: 0
; FloatMode: 240
; IeeeMode: 1
; LDSByteSize: 0 bytes/workgroup (compile time only)
; SGPRBlocks: 3
; VGPRBlocks: 21
; NumSGPRsForWavesPerEU: 32
; NumVGPRsForWavesPerEU: 88
; Occupancy: 2
; WaveLimiterHint : 1
; COMPUTE_PGM_RSRC2:SCRATCH_EN: 0
; COMPUTE_PGM_RSRC2:USER_SGPR: 6
; COMPUTE_PGM_RSRC2:TRAP_HANDLER: 0
; COMPUTE_PGM_RSRC2:TGID_X_EN: 1
; COMPUTE_PGM_RSRC2:TGID_Y_EN: 0
; COMPUTE_PGM_RSRC2:TGID_Z_EN: 0
; COMPUTE_PGM_RSRC2:TIDIG_COMP_CNT: 0
	.type	__hip_cuid_797585cb4ec1021e,@object ; @__hip_cuid_797585cb4ec1021e
	.section	.bss,"aw",@nobits
	.globl	__hip_cuid_797585cb4ec1021e
__hip_cuid_797585cb4ec1021e:
	.byte	0                               ; 0x0
	.size	__hip_cuid_797585cb4ec1021e, 1

	.ident	"AMD clang version 19.0.0git (https://github.com/RadeonOpenCompute/llvm-project roc-6.4.0 25133 c7fe45cf4b819c5991fe208aaa96edf142730f1d)"
	.section	".note.GNU-stack","",@progbits
	.addrsig
	.addrsig_sym __hip_cuid_797585cb4ec1021e
	.amdgpu_metadata
---
amdhsa.kernels:
  - .args:
      - .actual_access:  read_only
        .address_space:  global
        .offset:         0
        .size:           8
        .value_kind:     global_buffer
      - .offset:         8
        .size:           8
        .value_kind:     by_value
      - .actual_access:  read_only
        .address_space:  global
        .offset:         16
        .size:           8
        .value_kind:     global_buffer
      - .actual_access:  read_only
        .address_space:  global
        .offset:         24
        .size:           8
        .value_kind:     global_buffer
      - .actual_access:  read_only
        .address_space:  global
        .offset:         32
        .size:           8
        .value_kind:     global_buffer
      - .offset:         40
        .size:           8
        .value_kind:     by_value
      - .actual_access:  read_only
        .address_space:  global
        .offset:         48
        .size:           8
        .value_kind:     global_buffer
      - .actual_access:  read_only
        .address_space:  global
        .offset:         56
        .size:           8
        .value_kind:     global_buffer
      - .offset:         64
        .size:           4
        .value_kind:     by_value
      - .actual_access:  read_only
        .address_space:  global
        .offset:         72
        .size:           8
        .value_kind:     global_buffer
      - .actual_access:  read_only
        .address_space:  global
        .offset:         80
        .size:           8
        .value_kind:     global_buffer
      - .actual_access:  read_only
        .address_space:  global
        .offset:         88
        .size:           8
        .value_kind:     global_buffer
      - .actual_access:  write_only
        .address_space:  global
        .offset:         96
        .size:           8
        .value_kind:     global_buffer
    .group_segment_fixed_size: 0
    .kernarg_segment_align: 8
    .kernarg_segment_size: 104
    .language:       OpenCL C
    .language_version:
      - 2
      - 0
    .max_flat_workgroup_size: 120
    .name:           fft_rtc_fwd_len17_factors_17_wgs_120_tpt_1_half_op_CI_CI_sbrc_erc_z_xy_unaligned_dirReg
    .private_segment_fixed_size: 0
    .sgpr_count:     32
    .sgpr_spill_count: 0
    .symbol:         fft_rtc_fwd_len17_factors_17_wgs_120_tpt_1_half_op_CI_CI_sbrc_erc_z_xy_unaligned_dirReg.kd
    .uniform_work_group_size: 1
    .uses_dynamic_stack: false
    .vgpr_count:     88
    .vgpr_spill_count: 0
    .wavefront_size: 64
amdhsa.target:   amdgcn-amd-amdhsa--gfx906
amdhsa.version:
  - 1
  - 2
...

	.end_amdgpu_metadata
